;; amdgpu-corpus repo=ROCm/rocSPARSE kind=compiled arch=gfx906 opt=O3
	.amdgcn_target "amdgcn-amd-amdhsa--gfx906"
	.amdhsa_code_object_version 6
	.section	.text._ZN9rocsparseL14coo2csr_kernelILj512EiiEEvT1_T0_PKS1_PS2_21rocsparse_index_base_,"axG",@progbits,_ZN9rocsparseL14coo2csr_kernelILj512EiiEEvT1_T0_PKS1_PS2_21rocsparse_index_base_,comdat
	.globl	_ZN9rocsparseL14coo2csr_kernelILj512EiiEEvT1_T0_PKS1_PS2_21rocsparse_index_base_ ; -- Begin function _ZN9rocsparseL14coo2csr_kernelILj512EiiEEvT1_T0_PKS1_PS2_21rocsparse_index_base_
	.p2align	8
	.type	_ZN9rocsparseL14coo2csr_kernelILj512EiiEEvT1_T0_PKS1_PS2_21rocsparse_index_base_,@function
_ZN9rocsparseL14coo2csr_kernelILj512EiiEEvT1_T0_PKS1_PS2_21rocsparse_index_base_: ; @_ZN9rocsparseL14coo2csr_kernelILj512EiiEEvT1_T0_PKS1_PS2_21rocsparse_index_base_
; %bb.0:
	s_load_dwordx2 s[8:9], s[4:5], 0x0
	v_lshl_or_b32 v0, s6, 9, v0
	s_waitcnt lgkmcnt(0)
	v_cmp_gt_i32_e32 vcc, s8, v0
	s_and_saveexec_b64 s[0:1], vcc
	s_cbranch_execz .LBB0_11
; %bb.1:
	s_load_dwordx4 s[0:3], s[4:5], 0x8
	s_load_dword s10, s[4:5], 0x18
	v_cmp_ne_u32_e32 vcc, 0, v0
                                        ; implicit-def: $vgpr2
	s_and_saveexec_b64 s[4:5], vcc
	s_xor_b64 s[4:5], exec, s[4:5]
	s_cbranch_execz .LBB0_8
; %bb.2:
	s_cmp_lt_i32 s9, 1
	s_cbranch_scc1 .LBB0_6
; %bb.3:
	s_waitcnt lgkmcnt(0)
	v_add_u32_e32 v4, s10, v0
	v_mov_b32_e32 v2, 0
	s_mov_b64 s[6:7], 0
	v_mov_b32_e32 v5, s9
	v_mov_b32_e32 v6, s1
	;; [unrolled: 1-line block ×3, first 2 shown]
.LBB0_4:                                ; =>This Inner Loop Header: Depth=1
	v_sub_u32_e32 v1, v5, v3
	v_lshrrev_b32_e32 v1, 1, v1
	v_add_u32_e32 v1, v1, v3
	v_lshlrev_b64 v[7:8], 2, v[1:2]
	v_add_co_u32_e32 v7, vcc, s0, v7
	v_addc_co_u32_e32 v8, vcc, v6, v8, vcc
	global_load_dword v7, v[7:8], off
	v_add_u32_e32 v8, 1, v1
	s_waitcnt vmcnt(0)
	v_cmp_lt_i32_e32 vcc, v7, v4
	v_cndmask_b32_e32 v5, v1, v5, vcc
	v_cndmask_b32_e32 v3, v3, v8, vcc
	v_cmp_ge_i32_e32 vcc, v3, v5
	s_or_b64 s[6:7], vcc, s[6:7]
	s_andn2_b64 exec, exec, s[6:7]
	s_cbranch_execnz .LBB0_4
; %bb.5:
	s_or_b64 exec, exec, s[6:7]
	s_branch .LBB0_7
.LBB0_6:
	v_mov_b32_e32 v3, 0
.LBB0_7:
	s_waitcnt lgkmcnt(0)
	v_add_u32_e32 v2, s10, v3
.LBB0_8:
	s_waitcnt lgkmcnt(0)
	s_andn2_saveexec_b64 s[0:1], s[4:5]
	s_cbranch_execz .LBB0_10
; %bb.9:
	v_mov_b32_e32 v0, 0
	v_mov_b32_e32 v1, s10
	s_add_i32 s4, s10, s9
	global_store_dword v0, v1, s[2:3]
	v_mov_b32_e32 v0, s8
	v_mov_b32_e32 v2, s4
.LBB0_10:
	s_or_b64 exec, exec, s[0:1]
	v_ashrrev_i32_e32 v1, 31, v0
	v_lshlrev_b64 v[0:1], 2, v[0:1]
	v_mov_b32_e32 v3, s3
	v_add_co_u32_e32 v0, vcc, s2, v0
	v_addc_co_u32_e32 v1, vcc, v3, v1, vcc
	global_store_dword v[0:1], v2, off
.LBB0_11:
	s_endpgm
	.section	.rodata,"a",@progbits
	.p2align	6, 0x0
	.amdhsa_kernel _ZN9rocsparseL14coo2csr_kernelILj512EiiEEvT1_T0_PKS1_PS2_21rocsparse_index_base_
		.amdhsa_group_segment_fixed_size 0
		.amdhsa_private_segment_fixed_size 0
		.amdhsa_kernarg_size 28
		.amdhsa_user_sgpr_count 6
		.amdhsa_user_sgpr_private_segment_buffer 1
		.amdhsa_user_sgpr_dispatch_ptr 0
		.amdhsa_user_sgpr_queue_ptr 0
		.amdhsa_user_sgpr_kernarg_segment_ptr 1
		.amdhsa_user_sgpr_dispatch_id 0
		.amdhsa_user_sgpr_flat_scratch_init 0
		.amdhsa_user_sgpr_private_segment_size 0
		.amdhsa_uses_dynamic_stack 0
		.amdhsa_system_sgpr_private_segment_wavefront_offset 0
		.amdhsa_system_sgpr_workgroup_id_x 1
		.amdhsa_system_sgpr_workgroup_id_y 0
		.amdhsa_system_sgpr_workgroup_id_z 0
		.amdhsa_system_sgpr_workgroup_info 0
		.amdhsa_system_vgpr_workitem_id 0
		.amdhsa_next_free_vgpr 9
		.amdhsa_next_free_sgpr 11
		.amdhsa_reserve_vcc 1
		.amdhsa_reserve_flat_scratch 0
		.amdhsa_float_round_mode_32 0
		.amdhsa_float_round_mode_16_64 0
		.amdhsa_float_denorm_mode_32 3
		.amdhsa_float_denorm_mode_16_64 3
		.amdhsa_dx10_clamp 1
		.amdhsa_ieee_mode 1
		.amdhsa_fp16_overflow 0
		.amdhsa_exception_fp_ieee_invalid_op 0
		.amdhsa_exception_fp_denorm_src 0
		.amdhsa_exception_fp_ieee_div_zero 0
		.amdhsa_exception_fp_ieee_overflow 0
		.amdhsa_exception_fp_ieee_underflow 0
		.amdhsa_exception_fp_ieee_inexact 0
		.amdhsa_exception_int_div_zero 0
	.end_amdhsa_kernel
	.section	.text._ZN9rocsparseL14coo2csr_kernelILj512EiiEEvT1_T0_PKS1_PS2_21rocsparse_index_base_,"axG",@progbits,_ZN9rocsparseL14coo2csr_kernelILj512EiiEEvT1_T0_PKS1_PS2_21rocsparse_index_base_,comdat
.Lfunc_end0:
	.size	_ZN9rocsparseL14coo2csr_kernelILj512EiiEEvT1_T0_PKS1_PS2_21rocsparse_index_base_, .Lfunc_end0-_ZN9rocsparseL14coo2csr_kernelILj512EiiEEvT1_T0_PKS1_PS2_21rocsparse_index_base_
                                        ; -- End function
	.set _ZN9rocsparseL14coo2csr_kernelILj512EiiEEvT1_T0_PKS1_PS2_21rocsparse_index_base_.num_vgpr, 9
	.set _ZN9rocsparseL14coo2csr_kernelILj512EiiEEvT1_T0_PKS1_PS2_21rocsparse_index_base_.num_agpr, 0
	.set _ZN9rocsparseL14coo2csr_kernelILj512EiiEEvT1_T0_PKS1_PS2_21rocsparse_index_base_.numbered_sgpr, 11
	.set _ZN9rocsparseL14coo2csr_kernelILj512EiiEEvT1_T0_PKS1_PS2_21rocsparse_index_base_.num_named_barrier, 0
	.set _ZN9rocsparseL14coo2csr_kernelILj512EiiEEvT1_T0_PKS1_PS2_21rocsparse_index_base_.private_seg_size, 0
	.set _ZN9rocsparseL14coo2csr_kernelILj512EiiEEvT1_T0_PKS1_PS2_21rocsparse_index_base_.uses_vcc, 1
	.set _ZN9rocsparseL14coo2csr_kernelILj512EiiEEvT1_T0_PKS1_PS2_21rocsparse_index_base_.uses_flat_scratch, 0
	.set _ZN9rocsparseL14coo2csr_kernelILj512EiiEEvT1_T0_PKS1_PS2_21rocsparse_index_base_.has_dyn_sized_stack, 0
	.set _ZN9rocsparseL14coo2csr_kernelILj512EiiEEvT1_T0_PKS1_PS2_21rocsparse_index_base_.has_recursion, 0
	.set _ZN9rocsparseL14coo2csr_kernelILj512EiiEEvT1_T0_PKS1_PS2_21rocsparse_index_base_.has_indirect_call, 0
	.section	.AMDGPU.csdata,"",@progbits
; Kernel info:
; codeLenInByte = 272
; TotalNumSgprs: 15
; NumVgprs: 9
; ScratchSize: 0
; MemoryBound: 0
; FloatMode: 240
; IeeeMode: 1
; LDSByteSize: 0 bytes/workgroup (compile time only)
; SGPRBlocks: 1
; VGPRBlocks: 2
; NumSGPRsForWavesPerEU: 15
; NumVGPRsForWavesPerEU: 9
; Occupancy: 10
; WaveLimiterHint : 0
; COMPUTE_PGM_RSRC2:SCRATCH_EN: 0
; COMPUTE_PGM_RSRC2:USER_SGPR: 6
; COMPUTE_PGM_RSRC2:TRAP_HANDLER: 0
; COMPUTE_PGM_RSRC2:TGID_X_EN: 1
; COMPUTE_PGM_RSRC2:TGID_Y_EN: 0
; COMPUTE_PGM_RSRC2:TGID_Z_EN: 0
; COMPUTE_PGM_RSRC2:TIDIG_COMP_CNT: 0
	.section	.text._ZN9rocsparseL14coo2csr_kernelILj512EliEEvT1_T0_PKS1_PS2_21rocsparse_index_base_,"axG",@progbits,_ZN9rocsparseL14coo2csr_kernelILj512EliEEvT1_T0_PKS1_PS2_21rocsparse_index_base_,comdat
	.globl	_ZN9rocsparseL14coo2csr_kernelILj512EliEEvT1_T0_PKS1_PS2_21rocsparse_index_base_ ; -- Begin function _ZN9rocsparseL14coo2csr_kernelILj512EliEEvT1_T0_PKS1_PS2_21rocsparse_index_base_
	.p2align	8
	.type	_ZN9rocsparseL14coo2csr_kernelILj512EliEEvT1_T0_PKS1_PS2_21rocsparse_index_base_,@function
_ZN9rocsparseL14coo2csr_kernelILj512EliEEvT1_T0_PKS1_PS2_21rocsparse_index_base_: ; @_ZN9rocsparseL14coo2csr_kernelILj512EliEEvT1_T0_PKS1_PS2_21rocsparse_index_base_
; %bb.0:
	s_load_dword s12, s[4:5], 0x0
	v_lshl_or_b32 v0, s6, 9, v0
	s_waitcnt lgkmcnt(0)
	v_cmp_gt_i32_e32 vcc, s12, v0
	s_and_saveexec_b64 s[0:1], vcc
	s_cbranch_execz .LBB1_11
; %bb.1:
	s_load_dwordx4 s[0:3], s[4:5], 0x8
	s_load_dwordx2 s[6:7], s[4:5], 0x18
	s_load_dword s8, s[4:5], 0x20
	v_cmp_ne_u32_e32 vcc, 0, v0
                                        ; implicit-def: $vgpr3_vgpr4
	s_and_saveexec_b64 s[4:5], vcc
	s_xor_b64 s[4:5], exec, s[4:5]
	s_cbranch_execz .LBB1_8
; %bb.2:
	s_waitcnt lgkmcnt(0)
	v_cmp_lt_i64_e64 s[10:11], s[0:1], 1
	s_and_b64 vcc, exec, s[10:11]
	s_cbranch_vccnz .LBB1_6
; %bb.3:
	v_mov_b32_e32 v1, 0
	v_mov_b32_e32 v4, s1
	v_add_u32_e32 v5, s8, v0
	s_mov_b64 s[10:11], 0
	v_mov_b32_e32 v2, 0
	v_mov_b32_e32 v3, s0
	;; [unrolled: 1-line block ×3, first 2 shown]
.LBB1_4:                                ; =>This Inner Loop Header: Depth=1
	v_sub_co_u32_e32 v7, vcc, v3, v1
	v_subb_co_u32_e32 v8, vcc, v4, v2, vcc
	v_lshrrev_b64 v[7:8], 1, v[7:8]
	v_add_co_u32_e32 v7, vcc, v7, v1
	v_addc_co_u32_e32 v8, vcc, v8, v2, vcc
	v_lshlrev_b64 v[9:10], 2, v[7:8]
	v_add_co_u32_e32 v9, vcc, s2, v9
	v_addc_co_u32_e32 v10, vcc, v6, v10, vcc
	global_load_dword v9, v[9:10], off
	v_add_co_u32_e32 v10, vcc, 1, v7
	v_addc_co_u32_e32 v11, vcc, 0, v8, vcc
	s_waitcnt vmcnt(0)
	v_cmp_lt_i32_e32 vcc, v9, v5
	v_cndmask_b32_e32 v4, v8, v4, vcc
	v_cndmask_b32_e32 v3, v7, v3, vcc
	;; [unrolled: 1-line block ×4, first 2 shown]
	v_cmp_ge_i64_e32 vcc, v[1:2], v[3:4]
	s_or_b64 s[10:11], vcc, s[10:11]
	s_andn2_b64 exec, exec, s[10:11]
	s_cbranch_execnz .LBB1_4
; %bb.5:
	s_or_b64 exec, exec, s[10:11]
	s_branch .LBB1_7
.LBB1_6:
	v_mov_b32_e32 v1, 0
	v_mov_b32_e32 v2, 0
.LBB1_7:
	v_add_co_u32_e32 v3, vcc, s8, v1
	v_addc_co_u32_e32 v4, vcc, 0, v2, vcc
.LBB1_8:
	s_waitcnt lgkmcnt(0)
	s_andn2_saveexec_b64 s[2:3], s[4:5]
	s_cbranch_execz .LBB1_10
; %bb.9:
	s_add_u32 s0, s0, s8
	s_mov_b32 s9, 0
	v_mov_b32_e32 v0, s8
	s_addc_u32 s1, s1, 0
	v_mov_b32_e32 v2, 0
	v_mov_b32_e32 v1, s9
	;; [unrolled: 1-line block ×3, first 2 shown]
	global_store_dwordx2 v2, v[0:1], s[6:7]
	v_mov_b32_e32 v0, s12
	v_mov_b32_e32 v3, s0
.LBB1_10:
	s_or_b64 exec, exec, s[2:3]
	v_ashrrev_i32_e32 v1, 31, v0
	v_lshlrev_b64 v[0:1], 3, v[0:1]
	v_mov_b32_e32 v2, s7
	v_add_co_u32_e32 v0, vcc, s6, v0
	v_addc_co_u32_e32 v1, vcc, v2, v1, vcc
	global_store_dwordx2 v[0:1], v[3:4], off
.LBB1_11:
	s_endpgm
	.section	.rodata,"a",@progbits
	.p2align	6, 0x0
	.amdhsa_kernel _ZN9rocsparseL14coo2csr_kernelILj512EliEEvT1_T0_PKS1_PS2_21rocsparse_index_base_
		.amdhsa_group_segment_fixed_size 0
		.amdhsa_private_segment_fixed_size 0
		.amdhsa_kernarg_size 36
		.amdhsa_user_sgpr_count 6
		.amdhsa_user_sgpr_private_segment_buffer 1
		.amdhsa_user_sgpr_dispatch_ptr 0
		.amdhsa_user_sgpr_queue_ptr 0
		.amdhsa_user_sgpr_kernarg_segment_ptr 1
		.amdhsa_user_sgpr_dispatch_id 0
		.amdhsa_user_sgpr_flat_scratch_init 0
		.amdhsa_user_sgpr_private_segment_size 0
		.amdhsa_uses_dynamic_stack 0
		.amdhsa_system_sgpr_private_segment_wavefront_offset 0
		.amdhsa_system_sgpr_workgroup_id_x 1
		.amdhsa_system_sgpr_workgroup_id_y 0
		.amdhsa_system_sgpr_workgroup_id_z 0
		.amdhsa_system_sgpr_workgroup_info 0
		.amdhsa_system_vgpr_workitem_id 0
		.amdhsa_next_free_vgpr 12
		.amdhsa_next_free_sgpr 13
		.amdhsa_reserve_vcc 1
		.amdhsa_reserve_flat_scratch 0
		.amdhsa_float_round_mode_32 0
		.amdhsa_float_round_mode_16_64 0
		.amdhsa_float_denorm_mode_32 3
		.amdhsa_float_denorm_mode_16_64 3
		.amdhsa_dx10_clamp 1
		.amdhsa_ieee_mode 1
		.amdhsa_fp16_overflow 0
		.amdhsa_exception_fp_ieee_invalid_op 0
		.amdhsa_exception_fp_denorm_src 0
		.amdhsa_exception_fp_ieee_div_zero 0
		.amdhsa_exception_fp_ieee_overflow 0
		.amdhsa_exception_fp_ieee_underflow 0
		.amdhsa_exception_fp_ieee_inexact 0
		.amdhsa_exception_int_div_zero 0
	.end_amdhsa_kernel
	.section	.text._ZN9rocsparseL14coo2csr_kernelILj512EliEEvT1_T0_PKS1_PS2_21rocsparse_index_base_,"axG",@progbits,_ZN9rocsparseL14coo2csr_kernelILj512EliEEvT1_T0_PKS1_PS2_21rocsparse_index_base_,comdat
.Lfunc_end1:
	.size	_ZN9rocsparseL14coo2csr_kernelILj512EliEEvT1_T0_PKS1_PS2_21rocsparse_index_base_, .Lfunc_end1-_ZN9rocsparseL14coo2csr_kernelILj512EliEEvT1_T0_PKS1_PS2_21rocsparse_index_base_
                                        ; -- End function
	.set _ZN9rocsparseL14coo2csr_kernelILj512EliEEvT1_T0_PKS1_PS2_21rocsparse_index_base_.num_vgpr, 12
	.set _ZN9rocsparseL14coo2csr_kernelILj512EliEEvT1_T0_PKS1_PS2_21rocsparse_index_base_.num_agpr, 0
	.set _ZN9rocsparseL14coo2csr_kernelILj512EliEEvT1_T0_PKS1_PS2_21rocsparse_index_base_.numbered_sgpr, 13
	.set _ZN9rocsparseL14coo2csr_kernelILj512EliEEvT1_T0_PKS1_PS2_21rocsparse_index_base_.num_named_barrier, 0
	.set _ZN9rocsparseL14coo2csr_kernelILj512EliEEvT1_T0_PKS1_PS2_21rocsparse_index_base_.private_seg_size, 0
	.set _ZN9rocsparseL14coo2csr_kernelILj512EliEEvT1_T0_PKS1_PS2_21rocsparse_index_base_.uses_vcc, 1
	.set _ZN9rocsparseL14coo2csr_kernelILj512EliEEvT1_T0_PKS1_PS2_21rocsparse_index_base_.uses_flat_scratch, 0
	.set _ZN9rocsparseL14coo2csr_kernelILj512EliEEvT1_T0_PKS1_PS2_21rocsparse_index_base_.has_dyn_sized_stack, 0
	.set _ZN9rocsparseL14coo2csr_kernelILj512EliEEvT1_T0_PKS1_PS2_21rocsparse_index_base_.has_recursion, 0
	.set _ZN9rocsparseL14coo2csr_kernelILj512EliEEvT1_T0_PKS1_PS2_21rocsparse_index_base_.has_indirect_call, 0
	.section	.AMDGPU.csdata,"",@progbits
; Kernel info:
; codeLenInByte = 336
; TotalNumSgprs: 17
; NumVgprs: 12
; ScratchSize: 0
; MemoryBound: 0
; FloatMode: 240
; IeeeMode: 1
; LDSByteSize: 0 bytes/workgroup (compile time only)
; SGPRBlocks: 2
; VGPRBlocks: 2
; NumSGPRsForWavesPerEU: 17
; NumVGPRsForWavesPerEU: 12
; Occupancy: 10
; WaveLimiterHint : 0
; COMPUTE_PGM_RSRC2:SCRATCH_EN: 0
; COMPUTE_PGM_RSRC2:USER_SGPR: 6
; COMPUTE_PGM_RSRC2:TRAP_HANDLER: 0
; COMPUTE_PGM_RSRC2:TGID_X_EN: 1
; COMPUTE_PGM_RSRC2:TGID_Y_EN: 0
; COMPUTE_PGM_RSRC2:TGID_Z_EN: 0
; COMPUTE_PGM_RSRC2:TIDIG_COMP_CNT: 0
	.section	.text._ZN9rocsparseL14coo2csr_kernelILj512EilEEvT1_T0_PKS1_PS2_21rocsparse_index_base_,"axG",@progbits,_ZN9rocsparseL14coo2csr_kernelILj512EilEEvT1_T0_PKS1_PS2_21rocsparse_index_base_,comdat
	.globl	_ZN9rocsparseL14coo2csr_kernelILj512EilEEvT1_T0_PKS1_PS2_21rocsparse_index_base_ ; -- Begin function _ZN9rocsparseL14coo2csr_kernelILj512EilEEvT1_T0_PKS1_PS2_21rocsparse_index_base_
	.p2align	8
	.type	_ZN9rocsparseL14coo2csr_kernelILj512EilEEvT1_T0_PKS1_PS2_21rocsparse_index_base_,@function
_ZN9rocsparseL14coo2csr_kernelILj512EilEEvT1_T0_PKS1_PS2_21rocsparse_index_base_: ; @_ZN9rocsparseL14coo2csr_kernelILj512EilEEvT1_T0_PKS1_PS2_21rocsparse_index_base_
; %bb.0:
	s_load_dwordx2 s[8:9], s[4:5], 0x0
	v_lshl_or_b32 v0, s6, 9, v0
	v_mov_b32_e32 v1, 0
	s_waitcnt lgkmcnt(0)
	v_cmp_gt_i64_e32 vcc, s[8:9], v[0:1]
	s_and_saveexec_b64 s[0:1], vcc
	s_cbranch_execz .LBB2_11
; %bb.1:
	s_load_dword s10, s[4:5], 0x8
	s_load_dwordx4 s[0:3], s[4:5], 0x10
	s_load_dword s11, s[4:5], 0x20
	v_cmp_ne_u32_e32 vcc, 0, v0
                                        ; implicit-def: $vgpr2
	s_and_saveexec_b64 s[4:5], vcc
	s_xor_b64 s[4:5], exec, s[4:5]
	s_cbranch_execz .LBB2_8
; %bb.2:
	s_waitcnt lgkmcnt(0)
	s_cmp_lt_i32 s10, 1
	s_cbranch_scc1 .LBB2_6
; %bb.3:
	v_add_co_u32_e32 v2, vcc, s11, v0
	v_addc_co_u32_e64 v3, s[6:7], 0, 0, vcc
	v_mov_b32_e32 v5, 0
	s_mov_b64 s[6:7], 0
	v_mov_b32_e32 v7, s10
	v_mov_b32_e32 v8, s1
	;; [unrolled: 1-line block ×3, first 2 shown]
.LBB2_4:                                ; =>This Inner Loop Header: Depth=1
	v_sub_u32_e32 v4, v7, v6
	v_lshrrev_b32_e32 v4, 1, v4
	v_add_u32_e32 v4, v4, v6
	v_lshlrev_b64 v[9:10], 3, v[4:5]
	v_add_u32_e32 v11, 1, v4
	v_add_co_u32_e32 v9, vcc, s0, v9
	v_addc_co_u32_e32 v10, vcc, v8, v10, vcc
	global_load_dwordx2 v[9:10], v[9:10], off
	s_waitcnt vmcnt(0)
	v_cmp_lt_i64_e32 vcc, v[9:10], v[2:3]
	v_cndmask_b32_e32 v7, v4, v7, vcc
	v_cndmask_b32_e32 v6, v6, v11, vcc
	v_cmp_ge_i32_e32 vcc, v6, v7
	s_or_b64 s[6:7], vcc, s[6:7]
	s_andn2_b64 exec, exec, s[6:7]
	s_cbranch_execnz .LBB2_4
; %bb.5:
	s_or_b64 exec, exec, s[6:7]
	s_branch .LBB2_7
.LBB2_6:
	v_mov_b32_e32 v6, 0
.LBB2_7:
	v_add_u32_e32 v2, s11, v6
.LBB2_8:
	s_waitcnt lgkmcnt(0)
	s_andn2_saveexec_b64 s[0:1], s[4:5]
	s_cbranch_execz .LBB2_10
; %bb.9:
	v_mov_b32_e32 v0, 0
	v_mov_b32_e32 v1, s11
	global_store_dword v0, v1, s[2:3]
	s_add_i32 s4, s11, s10
	v_mov_b32_e32 v0, s8
	v_mov_b32_e32 v1, s9
	;; [unrolled: 1-line block ×3, first 2 shown]
.LBB2_10:
	s_or_b64 exec, exec, s[0:1]
	v_lshlrev_b64 v[0:1], 2, v[0:1]
	v_mov_b32_e32 v3, s3
	v_add_co_u32_e32 v0, vcc, s2, v0
	v_addc_co_u32_e32 v1, vcc, v3, v1, vcc
	global_store_dword v[0:1], v2, off
.LBB2_11:
	s_endpgm
	.section	.rodata,"a",@progbits
	.p2align	6, 0x0
	.amdhsa_kernel _ZN9rocsparseL14coo2csr_kernelILj512EilEEvT1_T0_PKS1_PS2_21rocsparse_index_base_
		.amdhsa_group_segment_fixed_size 0
		.amdhsa_private_segment_fixed_size 0
		.amdhsa_kernarg_size 36
		.amdhsa_user_sgpr_count 6
		.amdhsa_user_sgpr_private_segment_buffer 1
		.amdhsa_user_sgpr_dispatch_ptr 0
		.amdhsa_user_sgpr_queue_ptr 0
		.amdhsa_user_sgpr_kernarg_segment_ptr 1
		.amdhsa_user_sgpr_dispatch_id 0
		.amdhsa_user_sgpr_flat_scratch_init 0
		.amdhsa_user_sgpr_private_segment_size 0
		.amdhsa_uses_dynamic_stack 0
		.amdhsa_system_sgpr_private_segment_wavefront_offset 0
		.amdhsa_system_sgpr_workgroup_id_x 1
		.amdhsa_system_sgpr_workgroup_id_y 0
		.amdhsa_system_sgpr_workgroup_id_z 0
		.amdhsa_system_sgpr_workgroup_info 0
		.amdhsa_system_vgpr_workitem_id 0
		.amdhsa_next_free_vgpr 12
		.amdhsa_next_free_sgpr 12
		.amdhsa_reserve_vcc 1
		.amdhsa_reserve_flat_scratch 0
		.amdhsa_float_round_mode_32 0
		.amdhsa_float_round_mode_16_64 0
		.amdhsa_float_denorm_mode_32 3
		.amdhsa_float_denorm_mode_16_64 3
		.amdhsa_dx10_clamp 1
		.amdhsa_ieee_mode 1
		.amdhsa_fp16_overflow 0
		.amdhsa_exception_fp_ieee_invalid_op 0
		.amdhsa_exception_fp_denorm_src 0
		.amdhsa_exception_fp_ieee_div_zero 0
		.amdhsa_exception_fp_ieee_overflow 0
		.amdhsa_exception_fp_ieee_underflow 0
		.amdhsa_exception_fp_ieee_inexact 0
		.amdhsa_exception_int_div_zero 0
	.end_amdhsa_kernel
	.section	.text._ZN9rocsparseL14coo2csr_kernelILj512EilEEvT1_T0_PKS1_PS2_21rocsparse_index_base_,"axG",@progbits,_ZN9rocsparseL14coo2csr_kernelILj512EilEEvT1_T0_PKS1_PS2_21rocsparse_index_base_,comdat
.Lfunc_end2:
	.size	_ZN9rocsparseL14coo2csr_kernelILj512EilEEvT1_T0_PKS1_PS2_21rocsparse_index_base_, .Lfunc_end2-_ZN9rocsparseL14coo2csr_kernelILj512EilEEvT1_T0_PKS1_PS2_21rocsparse_index_base_
                                        ; -- End function
	.set _ZN9rocsparseL14coo2csr_kernelILj512EilEEvT1_T0_PKS1_PS2_21rocsparse_index_base_.num_vgpr, 12
	.set _ZN9rocsparseL14coo2csr_kernelILj512EilEEvT1_T0_PKS1_PS2_21rocsparse_index_base_.num_agpr, 0
	.set _ZN9rocsparseL14coo2csr_kernelILj512EilEEvT1_T0_PKS1_PS2_21rocsparse_index_base_.numbered_sgpr, 12
	.set _ZN9rocsparseL14coo2csr_kernelILj512EilEEvT1_T0_PKS1_PS2_21rocsparse_index_base_.num_named_barrier, 0
	.set _ZN9rocsparseL14coo2csr_kernelILj512EilEEvT1_T0_PKS1_PS2_21rocsparse_index_base_.private_seg_size, 0
	.set _ZN9rocsparseL14coo2csr_kernelILj512EilEEvT1_T0_PKS1_PS2_21rocsparse_index_base_.uses_vcc, 1
	.set _ZN9rocsparseL14coo2csr_kernelILj512EilEEvT1_T0_PKS1_PS2_21rocsparse_index_base_.uses_flat_scratch, 0
	.set _ZN9rocsparseL14coo2csr_kernelILj512EilEEvT1_T0_PKS1_PS2_21rocsparse_index_base_.has_dyn_sized_stack, 0
	.set _ZN9rocsparseL14coo2csr_kernelILj512EilEEvT1_T0_PKS1_PS2_21rocsparse_index_base_.has_recursion, 0
	.set _ZN9rocsparseL14coo2csr_kernelILj512EilEEvT1_T0_PKS1_PS2_21rocsparse_index_base_.has_indirect_call, 0
	.section	.AMDGPU.csdata,"",@progbits
; Kernel info:
; codeLenInByte = 288
; TotalNumSgprs: 16
; NumVgprs: 12
; ScratchSize: 0
; MemoryBound: 0
; FloatMode: 240
; IeeeMode: 1
; LDSByteSize: 0 bytes/workgroup (compile time only)
; SGPRBlocks: 1
; VGPRBlocks: 2
; NumSGPRsForWavesPerEU: 16
; NumVGPRsForWavesPerEU: 12
; Occupancy: 10
; WaveLimiterHint : 0
; COMPUTE_PGM_RSRC2:SCRATCH_EN: 0
; COMPUTE_PGM_RSRC2:USER_SGPR: 6
; COMPUTE_PGM_RSRC2:TRAP_HANDLER: 0
; COMPUTE_PGM_RSRC2:TGID_X_EN: 1
; COMPUTE_PGM_RSRC2:TGID_Y_EN: 0
; COMPUTE_PGM_RSRC2:TGID_Z_EN: 0
; COMPUTE_PGM_RSRC2:TIDIG_COMP_CNT: 0
	.section	.text._ZN9rocsparseL14coo2csr_kernelILj512EllEEvT1_T0_PKS1_PS2_21rocsparse_index_base_,"axG",@progbits,_ZN9rocsparseL14coo2csr_kernelILj512EllEEvT1_T0_PKS1_PS2_21rocsparse_index_base_,comdat
	.globl	_ZN9rocsparseL14coo2csr_kernelILj512EllEEvT1_T0_PKS1_PS2_21rocsparse_index_base_ ; -- Begin function _ZN9rocsparseL14coo2csr_kernelILj512EllEEvT1_T0_PKS1_PS2_21rocsparse_index_base_
	.p2align	8
	.type	_ZN9rocsparseL14coo2csr_kernelILj512EllEEvT1_T0_PKS1_PS2_21rocsparse_index_base_,@function
_ZN9rocsparseL14coo2csr_kernelILj512EllEEvT1_T0_PKS1_PS2_21rocsparse_index_base_: ; @_ZN9rocsparseL14coo2csr_kernelILj512EllEEvT1_T0_PKS1_PS2_21rocsparse_index_base_
; %bb.0:
	s_load_dwordx8 s[8:15], s[4:5], 0x0
	v_lshl_or_b32 v0, s6, 9, v0
	v_mov_b32_e32 v1, 0
	s_waitcnt lgkmcnt(0)
	v_cmp_gt_i64_e32 vcc, s[8:9], v[0:1]
	s_and_saveexec_b64 s[0:1], vcc
	s_cbranch_execz .LBB3_9
; %bb.1:
	s_load_dword s0, s[4:5], 0x20
	s_mov_b32 s1, 0
	v_cmp_ne_u32_e32 vcc, 0, v0
                                        ; implicit-def: $vgpr2_vgpr3
	s_and_saveexec_b64 s[2:3], vcc
	s_xor_b64 s[2:3], exec, s[2:3]
	s_cbranch_execz .LBB3_6
; %bb.2:
	v_cmp_lt_i64_e64 s[4:5], s[10:11], 1
	s_and_b64 vcc, exec, s[4:5]
	s_cbranch_vccnz .LBB3_10
; %bb.3:
	s_waitcnt lgkmcnt(0)
	v_add_co_u32_e32 v4, vcc, s0, v0
	v_addc_co_u32_e64 v5, s[4:5], 0, 0, vcc
	v_mov_b32_e32 v2, 0
	v_mov_b32_e32 v6, s10
	s_mov_b64 s[4:5], 0
	v_mov_b32_e32 v3, 0
	v_mov_b32_e32 v7, s11
	;; [unrolled: 1-line block ×3, first 2 shown]
.LBB3_4:                                ; =>This Inner Loop Header: Depth=1
	v_sub_co_u32_e32 v9, vcc, v6, v2
	v_subb_co_u32_e32 v10, vcc, v7, v3, vcc
	v_lshrrev_b64 v[9:10], 1, v[9:10]
	v_add_co_u32_e32 v9, vcc, v9, v2
	v_addc_co_u32_e32 v10, vcc, v10, v3, vcc
	v_lshlrev_b64 v[11:12], 3, v[9:10]
	v_add_co_u32_e32 v11, vcc, s12, v11
	v_addc_co_u32_e32 v12, vcc, v8, v12, vcc
	global_load_dwordx2 v[11:12], v[11:12], off
	v_add_co_u32_e32 v13, vcc, 1, v9
	v_addc_co_u32_e32 v14, vcc, 0, v10, vcc
	s_waitcnt vmcnt(0)
	v_cmp_lt_i64_e32 vcc, v[11:12], v[4:5]
	v_cndmask_b32_e32 v7, v10, v7, vcc
	v_cndmask_b32_e32 v6, v9, v6, vcc
	;; [unrolled: 1-line block ×4, first 2 shown]
	v_cmp_ge_i64_e32 vcc, v[2:3], v[6:7]
	s_or_b64 s[4:5], vcc, s[4:5]
	s_andn2_b64 exec, exec, s[4:5]
	s_cbranch_execnz .LBB3_4
; %bb.5:
	s_or_b64 exec, exec, s[4:5]
.LBB3_6:
	s_andn2_saveexec_b64 s[2:3], s[2:3]
	s_cbranch_execz .LBB3_8
.LBB3_7:
	s_waitcnt lgkmcnt(0)
	v_mov_b32_e32 v0, s0
	v_mov_b32_e32 v2, 0
	;; [unrolled: 1-line block ×3, first 2 shown]
	global_store_dwordx2 v2, v[0:1], s[14:15]
	v_mov_b32_e32 v2, s10
	v_mov_b32_e32 v0, s8
	;; [unrolled: 1-line block ×4, first 2 shown]
.LBB3_8:
	s_or_b64 exec, exec, s[2:3]
	s_waitcnt lgkmcnt(0)
	v_add_co_u32_e32 v2, vcc, s0, v2
	v_lshlrev_b64 v[0:1], 3, v[0:1]
	v_addc_co_u32_e32 v3, vcc, 0, v3, vcc
	v_mov_b32_e32 v4, s15
	v_add_co_u32_e32 v0, vcc, s14, v0
	v_addc_co_u32_e32 v1, vcc, v4, v1, vcc
	global_store_dwordx2 v[0:1], v[2:3], off
.LBB3_9:
	s_endpgm
.LBB3_10:
	v_mov_b32_e32 v2, 0
	v_mov_b32_e32 v3, 0
	s_andn2_saveexec_b64 s[2:3], s[2:3]
	s_cbranch_execnz .LBB3_7
	s_branch .LBB3_8
	.section	.rodata,"a",@progbits
	.p2align	6, 0x0
	.amdhsa_kernel _ZN9rocsparseL14coo2csr_kernelILj512EllEEvT1_T0_PKS1_PS2_21rocsparse_index_base_
		.amdhsa_group_segment_fixed_size 0
		.amdhsa_private_segment_fixed_size 0
		.amdhsa_kernarg_size 36
		.amdhsa_user_sgpr_count 6
		.amdhsa_user_sgpr_private_segment_buffer 1
		.amdhsa_user_sgpr_dispatch_ptr 0
		.amdhsa_user_sgpr_queue_ptr 0
		.amdhsa_user_sgpr_kernarg_segment_ptr 1
		.amdhsa_user_sgpr_dispatch_id 0
		.amdhsa_user_sgpr_flat_scratch_init 0
		.amdhsa_user_sgpr_private_segment_size 0
		.amdhsa_uses_dynamic_stack 0
		.amdhsa_system_sgpr_private_segment_wavefront_offset 0
		.amdhsa_system_sgpr_workgroup_id_x 1
		.amdhsa_system_sgpr_workgroup_id_y 0
		.amdhsa_system_sgpr_workgroup_id_z 0
		.amdhsa_system_sgpr_workgroup_info 0
		.amdhsa_system_vgpr_workitem_id 0
		.amdhsa_next_free_vgpr 15
		.amdhsa_next_free_sgpr 16
		.amdhsa_reserve_vcc 1
		.amdhsa_reserve_flat_scratch 0
		.amdhsa_float_round_mode_32 0
		.amdhsa_float_round_mode_16_64 0
		.amdhsa_float_denorm_mode_32 3
		.amdhsa_float_denorm_mode_16_64 3
		.amdhsa_dx10_clamp 1
		.amdhsa_ieee_mode 1
		.amdhsa_fp16_overflow 0
		.amdhsa_exception_fp_ieee_invalid_op 0
		.amdhsa_exception_fp_denorm_src 0
		.amdhsa_exception_fp_ieee_div_zero 0
		.amdhsa_exception_fp_ieee_overflow 0
		.amdhsa_exception_fp_ieee_underflow 0
		.amdhsa_exception_fp_ieee_inexact 0
		.amdhsa_exception_int_div_zero 0
	.end_amdhsa_kernel
	.section	.text._ZN9rocsparseL14coo2csr_kernelILj512EllEEvT1_T0_PKS1_PS2_21rocsparse_index_base_,"axG",@progbits,_ZN9rocsparseL14coo2csr_kernelILj512EllEEvT1_T0_PKS1_PS2_21rocsparse_index_base_,comdat
.Lfunc_end3:
	.size	_ZN9rocsparseL14coo2csr_kernelILj512EllEEvT1_T0_PKS1_PS2_21rocsparse_index_base_, .Lfunc_end3-_ZN9rocsparseL14coo2csr_kernelILj512EllEEvT1_T0_PKS1_PS2_21rocsparse_index_base_
                                        ; -- End function
	.set _ZN9rocsparseL14coo2csr_kernelILj512EllEEvT1_T0_PKS1_PS2_21rocsparse_index_base_.num_vgpr, 15
	.set _ZN9rocsparseL14coo2csr_kernelILj512EllEEvT1_T0_PKS1_PS2_21rocsparse_index_base_.num_agpr, 0
	.set _ZN9rocsparseL14coo2csr_kernelILj512EllEEvT1_T0_PKS1_PS2_21rocsparse_index_base_.numbered_sgpr, 16
	.set _ZN9rocsparseL14coo2csr_kernelILj512EllEEvT1_T0_PKS1_PS2_21rocsparse_index_base_.num_named_barrier, 0
	.set _ZN9rocsparseL14coo2csr_kernelILj512EllEEvT1_T0_PKS1_PS2_21rocsparse_index_base_.private_seg_size, 0
	.set _ZN9rocsparseL14coo2csr_kernelILj512EllEEvT1_T0_PKS1_PS2_21rocsparse_index_base_.uses_vcc, 1
	.set _ZN9rocsparseL14coo2csr_kernelILj512EllEEvT1_T0_PKS1_PS2_21rocsparse_index_base_.uses_flat_scratch, 0
	.set _ZN9rocsparseL14coo2csr_kernelILj512EllEEvT1_T0_PKS1_PS2_21rocsparse_index_base_.has_dyn_sized_stack, 0
	.set _ZN9rocsparseL14coo2csr_kernelILj512EllEEvT1_T0_PKS1_PS2_21rocsparse_index_base_.has_recursion, 0
	.set _ZN9rocsparseL14coo2csr_kernelILj512EllEEvT1_T0_PKS1_PS2_21rocsparse_index_base_.has_indirect_call, 0
	.section	.AMDGPU.csdata,"",@progbits
; Kernel info:
; codeLenInByte = 336
; TotalNumSgprs: 20
; NumVgprs: 15
; ScratchSize: 0
; MemoryBound: 0
; FloatMode: 240
; IeeeMode: 1
; LDSByteSize: 0 bytes/workgroup (compile time only)
; SGPRBlocks: 2
; VGPRBlocks: 3
; NumSGPRsForWavesPerEU: 20
; NumVGPRsForWavesPerEU: 15
; Occupancy: 10
; WaveLimiterHint : 0
; COMPUTE_PGM_RSRC2:SCRATCH_EN: 0
; COMPUTE_PGM_RSRC2:USER_SGPR: 6
; COMPUTE_PGM_RSRC2:TRAP_HANDLER: 0
; COMPUTE_PGM_RSRC2:TGID_X_EN: 1
; COMPUTE_PGM_RSRC2:TGID_Y_EN: 0
; COMPUTE_PGM_RSRC2:TGID_Z_EN: 0
; COMPUTE_PGM_RSRC2:TIDIG_COMP_CNT: 0
	.section	.AMDGPU.gpr_maximums,"",@progbits
	.set amdgpu.max_num_vgpr, 0
	.set amdgpu.max_num_agpr, 0
	.set amdgpu.max_num_sgpr, 0
	.section	.AMDGPU.csdata,"",@progbits
	.type	__hip_cuid_4ba50572537b13d2,@object ; @__hip_cuid_4ba50572537b13d2
	.section	.bss,"aw",@nobits
	.globl	__hip_cuid_4ba50572537b13d2
__hip_cuid_4ba50572537b13d2:
	.byte	0                               ; 0x0
	.size	__hip_cuid_4ba50572537b13d2, 1

	.ident	"AMD clang version 22.0.0git (https://github.com/RadeonOpenCompute/llvm-project roc-7.2.4 26084 f58b06dce1f9c15707c5f808fd002e18c2accf7e)"
	.section	".note.GNU-stack","",@progbits
	.addrsig
	.addrsig_sym __hip_cuid_4ba50572537b13d2
	.amdgpu_metadata
---
amdhsa.kernels:
  - .args:
      - .offset:         0
        .size:           4
        .value_kind:     by_value
      - .offset:         4
        .size:           4
        .value_kind:     by_value
      - .address_space:  global
        .offset:         8
        .size:           8
        .value_kind:     global_buffer
      - .address_space:  global
        .offset:         16
        .size:           8
        .value_kind:     global_buffer
      - .offset:         24
        .size:           4
        .value_kind:     by_value
    .group_segment_fixed_size: 0
    .kernarg_segment_align: 8
    .kernarg_segment_size: 28
    .language:       OpenCL C
    .language_version:
      - 2
      - 0
    .max_flat_workgroup_size: 512
    .name:           _ZN9rocsparseL14coo2csr_kernelILj512EiiEEvT1_T0_PKS1_PS2_21rocsparse_index_base_
    .private_segment_fixed_size: 0
    .sgpr_count:     15
    .sgpr_spill_count: 0
    .symbol:         _ZN9rocsparseL14coo2csr_kernelILj512EiiEEvT1_T0_PKS1_PS2_21rocsparse_index_base_.kd
    .uniform_work_group_size: 1
    .uses_dynamic_stack: false
    .vgpr_count:     9
    .vgpr_spill_count: 0
    .wavefront_size: 64
  - .args:
      - .offset:         0
        .size:           4
        .value_kind:     by_value
      - .offset:         8
        .size:           8
        .value_kind:     by_value
      - .address_space:  global
        .offset:         16
        .size:           8
        .value_kind:     global_buffer
      - .address_space:  global
        .offset:         24
        .size:           8
        .value_kind:     global_buffer
      - .offset:         32
        .size:           4
        .value_kind:     by_value
    .group_segment_fixed_size: 0
    .kernarg_segment_align: 8
    .kernarg_segment_size: 36
    .language:       OpenCL C
    .language_version:
      - 2
      - 0
    .max_flat_workgroup_size: 512
    .name:           _ZN9rocsparseL14coo2csr_kernelILj512EliEEvT1_T0_PKS1_PS2_21rocsparse_index_base_
    .private_segment_fixed_size: 0
    .sgpr_count:     17
    .sgpr_spill_count: 0
    .symbol:         _ZN9rocsparseL14coo2csr_kernelILj512EliEEvT1_T0_PKS1_PS2_21rocsparse_index_base_.kd
    .uniform_work_group_size: 1
    .uses_dynamic_stack: false
    .vgpr_count:     12
    .vgpr_spill_count: 0
    .wavefront_size: 64
  - .args:
      - .offset:         0
        .size:           8
        .value_kind:     by_value
      - .offset:         8
        .size:           4
        .value_kind:     by_value
      - .address_space:  global
        .offset:         16
        .size:           8
        .value_kind:     global_buffer
      - .address_space:  global
        .offset:         24
        .size:           8
        .value_kind:     global_buffer
      - .offset:         32
        .size:           4
        .value_kind:     by_value
    .group_segment_fixed_size: 0
    .kernarg_segment_align: 8
    .kernarg_segment_size: 36
    .language:       OpenCL C
    .language_version:
      - 2
      - 0
    .max_flat_workgroup_size: 512
    .name:           _ZN9rocsparseL14coo2csr_kernelILj512EilEEvT1_T0_PKS1_PS2_21rocsparse_index_base_
    .private_segment_fixed_size: 0
    .sgpr_count:     16
    .sgpr_spill_count: 0
    .symbol:         _ZN9rocsparseL14coo2csr_kernelILj512EilEEvT1_T0_PKS1_PS2_21rocsparse_index_base_.kd
    .uniform_work_group_size: 1
    .uses_dynamic_stack: false
    .vgpr_count:     12
    .vgpr_spill_count: 0
    .wavefront_size: 64
  - .args:
      - .offset:         0
        .size:           8
        .value_kind:     by_value
      - .offset:         8
        .size:           8
        .value_kind:     by_value
      - .address_space:  global
        .offset:         16
        .size:           8
        .value_kind:     global_buffer
      - .address_space:  global
        .offset:         24
        .size:           8
        .value_kind:     global_buffer
      - .offset:         32
        .size:           4
        .value_kind:     by_value
    .group_segment_fixed_size: 0
    .kernarg_segment_align: 8
    .kernarg_segment_size: 36
    .language:       OpenCL C
    .language_version:
      - 2
      - 0
    .max_flat_workgroup_size: 512
    .name:           _ZN9rocsparseL14coo2csr_kernelILj512EllEEvT1_T0_PKS1_PS2_21rocsparse_index_base_
    .private_segment_fixed_size: 0
    .sgpr_count:     20
    .sgpr_spill_count: 0
    .symbol:         _ZN9rocsparseL14coo2csr_kernelILj512EllEEvT1_T0_PKS1_PS2_21rocsparse_index_base_.kd
    .uniform_work_group_size: 1
    .uses_dynamic_stack: false
    .vgpr_count:     15
    .vgpr_spill_count: 0
    .wavefront_size: 64
amdhsa.target:   amdgcn-amd-amdhsa--gfx906
amdhsa.version:
  - 1
  - 2
...

	.end_amdgpu_metadata
